;; amdgpu-corpus repo=ROCm/rocFFT kind=compiled arch=gfx906 opt=O3
	.text
	.amdgcn_target "amdgcn-amd-amdhsa--gfx906"
	.amdhsa_code_object_version 6
	.protected	fft_rtc_fwd_len96_factors_8_3_4_wgs_256_tpt_32_sp_ip_CI_sbcc_dirReg_intrinsicRead ; -- Begin function fft_rtc_fwd_len96_factors_8_3_4_wgs_256_tpt_32_sp_ip_CI_sbcc_dirReg_intrinsicRead
	.globl	fft_rtc_fwd_len96_factors_8_3_4_wgs_256_tpt_32_sp_ip_CI_sbcc_dirReg_intrinsicRead
	.p2align	8
	.type	fft_rtc_fwd_len96_factors_8_3_4_wgs_256_tpt_32_sp_ip_CI_sbcc_dirReg_intrinsicRead,@function
fft_rtc_fwd_len96_factors_8_3_4_wgs_256_tpt_32_sp_ip_CI_sbcc_dirReg_intrinsicRead: ; @fft_rtc_fwd_len96_factors_8_3_4_wgs_256_tpt_32_sp_ip_CI_sbcc_dirReg_intrinsicRead
; %bb.0:
	s_load_dwordx4 s[0:3], s[4:5], 0x18
	s_mov_b32 s7, 0
	s_mov_b64 s[22:23], 0
	s_waitcnt lgkmcnt(0)
	s_load_dwordx2 s[10:11], s[0:1], 0x8
	s_waitcnt lgkmcnt(0)
	s_add_u32 s8, s10, -1
	s_addc_u32 s9, s11, -1
	s_lshr_b64 s[8:9], s[8:9], 3
	s_add_u32 s18, s8, 1
	s_addc_u32 s19, s9, 0
	v_mov_b32_e32 v1, s18
	v_mov_b32_e32 v2, s19
	v_cmp_lt_u64_e32 vcc, s[6:7], v[1:2]
	s_cbranch_vccnz .LBB0_2
; %bb.1:
	v_cvt_f32_u32_e32 v1, s18
	s_sub_i32 s8, 0, s18
	s_mov_b32 s23, s7
	v_rcp_iflag_f32_e32 v1, v1
	v_mul_f32_e32 v1, 0x4f7ffffe, v1
	v_cvt_u32_f32_e32 v1, v1
	v_readfirstlane_b32 s9, v1
	s_mul_i32 s8, s8, s9
	s_mul_hi_u32 s8, s9, s8
	s_add_i32 s9, s9, s8
	s_mul_hi_u32 s8, s6, s9
	s_mul_i32 s12, s8, s18
	s_sub_i32 s12, s6, s12
	s_add_i32 s9, s8, 1
	s_sub_i32 s13, s12, s18
	s_cmp_ge_u32 s12, s18
	s_cselect_b32 s8, s9, s8
	s_cselect_b32 s12, s13, s12
	s_add_i32 s9, s8, 1
	s_cmp_ge_u32 s12, s18
	s_cselect_b32 s22, s9, s8
.LBB0_2:
	s_load_dwordx2 s[16:17], s[4:5], 0x0
	s_load_dwordx4 s[12:15], s[2:3], 0x0
	s_mul_i32 s8, s22, s19
	s_mul_hi_u32 s9, s22, s18
	s_add_i32 s9, s9, s8
	s_mul_i32 s8, s22, s18
	s_sub_u32 s24, s6, s8
	s_subb_u32 s25, 0, s9
	v_mov_b32_e32 v1, s24
	v_alignbit_b32 v1, s25, v1, 29
	s_waitcnt lgkmcnt(0)
	v_mul_lo_u32 v1, s14, v1
	s_load_dwordx2 s[8:9], s[4:5], 0x58
	s_load_dwordx2 s[20:21], s[4:5], 0x10
	s_lshl_b64 s[4:5], s[24:25], 3
	s_mul_hi_u32 s24, s14, s4
	v_add_u32_e32 v1, s24, v1
	s_mul_i32 s24, s15, s4
	v_add_u32_e32 v3, s24, v1
	s_waitcnt lgkmcnt(0)
	v_cmp_lt_u64_e64 s[24:25], s[20:21], 3
	s_mul_i32 s26, s14, s4
	v_mov_b32_e32 v4, s26
	s_and_b64 vcc, exec, s[24:25]
	s_cbranch_vccnz .LBB0_11
; %bb.3:
	s_add_u32 s24, s2, 16
	s_addc_u32 s25, s3, 0
	s_add_u32 s26, s0, 16
	v_mov_b32_e32 v1, s20
	s_addc_u32 s27, s1, 0
	s_mov_b64 s[28:29], 2
	s_mov_b32 s30, 0
	v_mov_b32_e32 v2, s21
	s_branch .LBB0_5
.LBB0_4:                                ;   in Loop: Header=BB0_5 Depth=1
	s_mul_i32 s19, s34, s19
	s_mul_hi_u32 s31, s34, s18
	s_add_i32 s19, s31, s19
	s_mul_i32 s31, s35, s18
	s_add_i32 s19, s19, s31
	s_mul_i32 s31, s0, s35
	s_mul_hi_u32 s33, s0, s34
	s_load_dwordx2 s[36:37], s[24:25], 0x0
	s_add_i32 s31, s33, s31
	s_mul_i32 s33, s1, s34
	s_add_i32 s31, s31, s33
	s_mul_i32 s33, s0, s34
	s_sub_u32 s22, s22, s33
	s_subb_u32 s23, s23, s31
	s_waitcnt lgkmcnt(0)
	s_mul_i32 s23, s36, s23
	s_mul_hi_u32 s31, s36, s22
	s_add_i32 s23, s31, s23
	s_mul_i32 s31, s37, s22
	s_add_i32 s23, s23, s31
	s_mul_i32 s22, s36, s22
	s_add_u32 s28, s28, 1
	v_mov_b32_e32 v5, s23
	v_add_co_u32_e32 v4, vcc, s22, v4
	s_addc_u32 s29, s29, 0
	v_addc_co_u32_e32 v3, vcc, v5, v3, vcc
	s_add_u32 s24, s24, 8
	s_addc_u32 s25, s25, 0
	v_cmp_ge_u64_e32 vcc, s[28:29], v[1:2]
	s_add_u32 s26, s26, 8
	s_mul_i32 s18, s34, s18
	s_addc_u32 s27, s27, 0
	s_mov_b64 s[22:23], s[0:1]
	s_cbranch_vccnz .LBB0_9
.LBB0_5:                                ; =>This Inner Loop Header: Depth=1
	s_load_dwordx2 s[34:35], s[26:27], 0x0
	s_waitcnt lgkmcnt(0)
	s_or_b64 s[0:1], s[22:23], s[34:35]
	s_mov_b32 s31, s1
	s_cmp_lg_u64 s[30:31], 0
	s_cbranch_scc0 .LBB0_7
; %bb.6:                                ;   in Loop: Header=BB0_5 Depth=1
	v_cvt_f32_u32_e32 v5, s34
	v_cvt_f32_u32_e32 v6, s35
	s_sub_u32 s0, 0, s34
	s_subb_u32 s1, 0, s35
	v_mac_f32_e32 v5, 0x4f800000, v6
	v_rcp_f32_e32 v5, v5
	v_mul_f32_e32 v5, 0x5f7ffffc, v5
	v_mul_f32_e32 v6, 0x2f800000, v5
	v_trunc_f32_e32 v6, v6
	v_mac_f32_e32 v5, 0xcf800000, v6
	v_cvt_u32_f32_e32 v6, v6
	v_cvt_u32_f32_e32 v5, v5
	v_readfirstlane_b32 s31, v6
	v_readfirstlane_b32 s33, v5
	s_mul_i32 s36, s0, s31
	s_mul_hi_u32 s38, s0, s33
	s_mul_i32 s37, s1, s33
	s_add_i32 s36, s38, s36
	s_mul_i32 s39, s0, s33
	s_add_i32 s36, s36, s37
	s_mul_hi_u32 s37, s33, s36
	s_mul_i32 s38, s33, s36
	s_mul_hi_u32 s33, s33, s39
	s_add_u32 s33, s33, s38
	s_addc_u32 s37, 0, s37
	s_mul_hi_u32 s40, s31, s39
	s_mul_i32 s39, s31, s39
	s_add_u32 s33, s33, s39
	s_mul_hi_u32 s38, s31, s36
	s_addc_u32 s33, s37, s40
	s_addc_u32 s37, s38, 0
	s_mul_i32 s36, s31, s36
	s_add_u32 s33, s33, s36
	s_addc_u32 s36, 0, s37
	v_add_co_u32_e32 v5, vcc, s33, v5
	s_cmp_lg_u64 vcc, 0
	s_addc_u32 s31, s31, s36
	v_readfirstlane_b32 s36, v5
	s_mul_i32 s33, s0, s31
	s_mul_hi_u32 s37, s0, s36
	s_add_i32 s33, s37, s33
	s_mul_i32 s1, s1, s36
	s_add_i32 s33, s33, s1
	s_mul_i32 s0, s0, s36
	s_mul_hi_u32 s37, s31, s0
	s_mul_i32 s38, s31, s0
	s_mul_i32 s40, s36, s33
	s_mul_hi_u32 s0, s36, s0
	s_mul_hi_u32 s39, s36, s33
	s_add_u32 s0, s0, s40
	s_addc_u32 s36, 0, s39
	s_add_u32 s0, s0, s38
	s_mul_hi_u32 s1, s31, s33
	s_addc_u32 s0, s36, s37
	s_addc_u32 s1, s1, 0
	s_mul_i32 s33, s31, s33
	s_add_u32 s0, s0, s33
	s_addc_u32 s1, 0, s1
	v_add_co_u32_e32 v5, vcc, s0, v5
	s_cmp_lg_u64 vcc, 0
	s_addc_u32 s0, s31, s1
	v_readfirstlane_b32 s33, v5
	s_mul_i32 s31, s22, s0
	s_mul_hi_u32 s36, s22, s33
	s_mul_hi_u32 s1, s22, s0
	s_add_u32 s31, s36, s31
	s_addc_u32 s1, 0, s1
	s_mul_hi_u32 s37, s23, s33
	s_mul_i32 s33, s23, s33
	s_add_u32 s31, s31, s33
	s_mul_hi_u32 s36, s23, s0
	s_addc_u32 s1, s1, s37
	s_addc_u32 s31, s36, 0
	s_mul_i32 s0, s23, s0
	s_add_u32 s33, s1, s0
	s_addc_u32 s31, 0, s31
	s_mul_i32 s0, s34, s31
	s_mul_hi_u32 s1, s34, s33
	s_add_i32 s0, s1, s0
	s_mul_i32 s1, s35, s33
	s_add_i32 s36, s0, s1
	s_mul_i32 s1, s34, s33
	v_mov_b32_e32 v5, s1
	s_sub_i32 s0, s23, s36
	v_sub_co_u32_e32 v5, vcc, s22, v5
	s_cmp_lg_u64 vcc, 0
	s_subb_u32 s37, s0, s35
	v_subrev_co_u32_e64 v6, s[0:1], s34, v5
	s_cmp_lg_u64 s[0:1], 0
	s_subb_u32 s0, s37, 0
	s_cmp_ge_u32 s0, s35
	v_readfirstlane_b32 s37, v6
	s_cselect_b32 s1, -1, 0
	s_cmp_ge_u32 s37, s34
	s_cselect_b32 s37, -1, 0
	s_cmp_eq_u32 s0, s35
	s_cselect_b32 s0, s37, s1
	s_add_u32 s1, s33, 1
	s_addc_u32 s37, s31, 0
	s_add_u32 s38, s33, 2
	s_addc_u32 s39, s31, 0
	s_cmp_lg_u32 s0, 0
	s_cselect_b32 s0, s38, s1
	s_cselect_b32 s1, s39, s37
	s_cmp_lg_u64 vcc, 0
	s_subb_u32 s36, s23, s36
	s_cmp_ge_u32 s36, s35
	v_readfirstlane_b32 s38, v5
	s_cselect_b32 s37, -1, 0
	s_cmp_ge_u32 s38, s34
	s_cselect_b32 s38, -1, 0
	s_cmp_eq_u32 s36, s35
	s_cselect_b32 s36, s38, s37
	s_cmp_lg_u32 s36, 0
	s_cselect_b32 s1, s1, s31
	s_cselect_b32 s0, s0, s33
	s_cbranch_execnz .LBB0_4
	s_branch .LBB0_8
.LBB0_7:                                ;   in Loop: Header=BB0_5 Depth=1
                                        ; implicit-def: $sgpr0_sgpr1
.LBB0_8:                                ;   in Loop: Header=BB0_5 Depth=1
	v_cvt_f32_u32_e32 v5, s34
	s_sub_i32 s0, 0, s34
	v_rcp_iflag_f32_e32 v5, v5
	v_mul_f32_e32 v5, 0x4f7ffffe, v5
	v_cvt_u32_f32_e32 v5, v5
	v_readfirstlane_b32 s1, v5
	s_mul_i32 s0, s0, s1
	s_mul_hi_u32 s0, s1, s0
	s_add_i32 s1, s1, s0
	s_mul_hi_u32 s0, s22, s1
	s_mul_i32 s31, s0, s34
	s_sub_i32 s31, s22, s31
	s_add_i32 s1, s0, 1
	s_sub_i32 s33, s31, s34
	s_cmp_ge_u32 s31, s34
	s_cselect_b32 s0, s1, s0
	s_cselect_b32 s31, s33, s31
	s_add_i32 s1, s0, 1
	s_cmp_ge_u32 s31, s34
	s_cselect_b32 s0, s1, s0
	s_mov_b32 s1, s30
	s_branch .LBB0_4
.LBB0_9:
	v_mov_b32_e32 v1, s18
	v_mov_b32_e32 v2, s19
	v_cmp_lt_u64_e32 vcc, s[6:7], v[1:2]
	s_mov_b64 s[22:23], 0
	s_cbranch_vccnz .LBB0_11
; %bb.10:
	v_cvt_f32_u32_e32 v1, s18
	s_sub_i32 s0, 0, s18
	v_rcp_iflag_f32_e32 v1, v1
	v_mul_f32_e32 v1, 0x4f7ffffe, v1
	v_cvt_u32_f32_e32 v1, v1
	v_readfirstlane_b32 s1, v1
	s_mul_i32 s0, s0, s1
	s_mul_hi_u32 s0, s1, s0
	s_add_i32 s1, s1, s0
	s_mul_hi_u32 s0, s6, s1
	s_mul_i32 s7, s0, s18
	s_sub_i32 s6, s6, s7
	s_add_i32 s1, s0, 1
	s_sub_i32 s7, s6, s18
	s_cmp_ge_u32 s6, s18
	s_cselect_b32 s0, s1, s0
	s_cselect_b32 s6, s7, s6
	s_add_i32 s1, s0, 1
	s_cmp_ge_u32 s6, s18
	s_cselect_b32 s22, s1, s0
.LBB0_11:
	s_lshl_b64 s[0:1], s[20:21], 3
	s_add_u32 s0, s2, s0
	s_addc_u32 s1, s3, s1
	s_load_dwordx2 s[0:1], s[0:1], 0x0
	v_and_b32_e32 v28, 7, v0
	v_lshrrev_b32_e32 v27, 3, v0
	v_add_u32_e32 v29, 24, v27
	v_mad_u64_u32 v[15:16], s[6:7], s12, v29, 0
	s_waitcnt lgkmcnt(0)
	s_mul_i32 s1, s1, s22
	s_mul_hi_u32 s2, s0, s22
	s_mul_i32 s0, s0, s22
	s_add_i32 s1, s2, s1
	v_mov_b32_e32 v1, s1
	v_add_co_u32_e32 v9, vcc, s0, v4
	v_addc_co_u32_e32 v10, vcc, v1, v3, vcc
	s_add_u32 s0, s4, 8
	v_mov_b32_e32 v1, s10
	s_addc_u32 s1, s5, 0
	v_mov_b32_e32 v2, s11
	v_cmp_le_u64_e32 vcc, s[0:1], v[1:2]
	v_mad_u64_u32 v[13:14], s[0:1], s14, v28, 0
	v_mad_u64_u32 v[11:12], s[0:1], s12, v27, 0
	s_movk_i32 s0, 0x60
	s_movk_i32 s1, 0x5f
	v_cmp_lt_u32_e64 s[2:3], s1, v0
	v_or_b32_e32 v1, s4, v28
	v_mov_b32_e32 v2, s5
	v_cmp_gt_u32_e64 s[0:1], s0, v0
	v_cndmask_b32_e64 v3, 0, 1, s[0:1]
	v_cmp_gt_u64_e64 s[0:1], s[10:11], v[1:2]
	s_or_b64 s[4:5], s[2:3], vcc
	v_cndmask_b32_e64 v1, 0, 1, s[0:1]
	v_cndmask_b32_e64 v1, v1, v3, s[4:5]
	v_and_b32_e32 v1, 1, v1
	v_cmp_eq_u32_e64 s[4:5], 1, v1
	v_add_u32_e32 v1, 12, v27
	v_add_lshl_u32 v2, v13, v11, 3
	v_mul_lo_u32 v1, s12, v1
	v_cndmask_b32_e64 v32, -1, v2, s[4:5]
	v_add_u32_e32 v2, 36, v27
	v_mul_lo_u32 v2, s12, v2
	v_add_lshl_u32 v1, v13, v1, 3
	v_cndmask_b32_e64 v33, -1, v1, s[4:5]
	v_add_lshl_u32 v1, v13, v15, 3
	v_add_u32_e32 v30, 48, v27
	v_mad_u64_u32 v[17:18], s[6:7], s12, v30, 0
	v_cndmask_b32_e64 v34, -1, v1, s[4:5]
	v_add_lshl_u32 v1, v13, v2, 3
	v_add_u32_e32 v2, 60, v27
	v_mul_lo_u32 v2, s12, v2
	v_add_u32_e32 v31, 0x48, v27
	v_mad_u64_u32 v[19:20], s[6:7], s12, v31, 0
	v_cndmask_b32_e64 v35, -1, v1, s[4:5]
	v_add_lshl_u32 v1, v13, v17, 3
	v_lshlrev_b32_e32 v3, 3, v9
	v_cndmask_b32_e64 v5, -1, v1, s[4:5]
	v_add_lshl_u32 v1, v13, v2, 3
	s_mov_b32 s11, 0x20000
	s_mov_b32 s10, -2
	v_readfirstlane_b32 s14, v3
	v_cndmask_b32_e64 v6, -1, v1, s[4:5]
	v_add_lshl_u32 v1, v13, v19, 3
	v_cndmask_b32_e64 v7, -1, v1, s[4:5]
	s_nop 1
	buffer_load_dwordx2 v[1:2], v5, s[8:11], s14 offen
	buffer_load_dwordx2 v[3:4], v6, s[8:11], s14 offen
	;; [unrolled: 1-line block ×3, first 2 shown]
	v_add_u32_e32 v5, 0x54, v27
	v_mul_lo_u32 v36, s12, v5
	buffer_load_dwordx2 v[7:8], v32, s[8:11], s14 offen
	buffer_load_dwordx2 v[5:6], v33, s[8:11], s14 offen
	;; [unrolled: 1-line block ×4, first 2 shown]
	v_add_lshl_u32 v32, v13, v36, 3
	v_cndmask_b32_e64 v32, -1, v32, s[4:5]
	buffer_load_dwordx2 v[40:41], v32, s[8:11], s14 offen
	v_lshlrev_b32_e32 v32, 6, v27
	s_waitcnt vmcnt(4)
	v_sub_f32_e32 v33, v7, v1
	v_sub_f32_e32 v35, v8, v2
	s_waitcnt vmcnt(2)
	v_sub_f32_e32 v39, v23, v25
	v_sub_f32_e32 v43, v24, v26
	;; [unrolled: 1-line block ×5, first 2 shown]
	v_add_f32_e32 v36, v35, v39
	s_waitcnt vmcnt(0)
	v_sub_f32_e32 v44, v21, v40
	v_sub_f32_e32 v41, v22, v41
	;; [unrolled: 1-line block ×3, first 2 shown]
	v_add_f32_e32 v42, v38, v44
	v_mov_b32_e32 v1, v34
	v_mov_b32_e32 v2, v36
	v_fmac_f32_e32 v1, 0x3f3504f3, v40
	v_fmac_f32_e32 v2, 0x3f3504f3, v42
	v_fmac_f32_e32 v1, 0xbf3504f3, v42
	v_fmac_f32_e32 v2, 0x3f3504f3, v40
	s_and_saveexec_b64 s[4:5], s[2:3]
	s_xor_b64 s[2:3], exec, s[4:5]
; %bb.12:
	v_lshlrev_b32_e32 v32, 6, v27
                                        ; implicit-def: $vgpr33
                                        ; implicit-def: $vgpr35
                                        ; implicit-def: $vgpr39
                                        ; implicit-def: $vgpr43
                                        ; implicit-def: $vgpr37
                                        ; implicit-def: $vgpr38
                                        ; implicit-def: $vgpr44
                                        ; implicit-def: $vgpr41
                                        ; implicit-def: $vgpr40
                                        ; implicit-def: $vgpr42
                                        ; implicit-def: $vgpr7_vgpr8
                                        ; implicit-def: $vgpr5_vgpr6
                                        ; implicit-def: $vgpr23_vgpr24
                                        ; implicit-def: $vgpr21_vgpr22
; %bb.13:
	s_or_saveexec_b64 s[2:3], s[2:3]
	v_mov_b32_e32 v26, v14
	v_mov_b32_e32 v25, v12
	;; [unrolled: 1-line block ×4, first 2 shown]
	v_fma_f32 v3, v34, 2.0, -v1
	v_fma_f32 v4, v36, 2.0, -v2
	v_lshlrev_b32_e32 v18, 3, v28
	s_xor_b64 exec, exec, s[2:3]
	s_cbranch_execz .LBB0_15
; %bb.14:
	v_fma_f32 v45, v8, 2.0, -v35
	v_fma_f32 v8, v24, 2.0, -v43
	;; [unrolled: 1-line block ×4, first 2 shown]
	v_sub_f32_e32 v44, v43, v5
	v_fma_f32 v46, v7, 2.0, -v33
	v_fma_f32 v5, v23, 2.0, -v39
	v_sub_f32_e32 v39, v46, v5
	v_fma_f32 v47, v6, 2.0, -v38
	v_fma_f32 v5, v22, 2.0, -v41
	v_sub_f32_e32 v41, v47, v5
	v_fma_f32 v5, v35, 2.0, -v36
	v_fma_f32 v35, v38, 2.0, -v42
	v_mov_b32_e32 v6, v5
	v_fma_f32 v22, v37, 2.0, -v40
	v_fmac_f32_e32 v6, 0xbf3504f3, v35
	v_fmac_f32_e32 v6, 0x3f3504f3, v22
	v_fma_f32 v33, v33, 2.0, -v34
	v_fma_f32 v23, v5, 2.0, -v6
	v_mov_b32_e32 v5, v33
	v_sub_f32_e32 v24, v45, v8
	v_fmac_f32_e32 v5, 0xbf3504f3, v22
	v_add_f32_e32 v8, v24, v44
	v_fmac_f32_e32 v5, 0xbf3504f3, v35
	v_fma_f32 v21, v24, 2.0, -v8
	v_fma_f32 v22, v33, 2.0, -v5
	;; [unrolled: 1-line block ×4, first 2 shown]
	v_sub_f32_e32 v34, v24, v33
	v_fma_f32 v36, v24, 2.0, -v34
	v_fma_f32 v24, v46, 2.0, -v39
	;; [unrolled: 1-line block ×3, first 2 shown]
	v_sub_f32_e32 v33, v24, v33
	v_fma_f32 v35, v24, 2.0, -v33
	v_lshlrev_b32_e32 v24, 9, v27
	v_sub_f32_e32 v7, v39, v41
	v_add3_u32 v24, 0, v24, v18
	v_fma_f32 v20, v39, 2.0, -v7
	ds_write2_b64 v24, v[35:36], v[22:23] offset1:8
	ds_write2_b64 v24, v[20:21], v[3:4] offset0:16 offset1:24
	ds_write2_b64 v24, v[33:34], v[5:6] offset0:32 offset1:40
	;; [unrolled: 1-line block ×3, first 2 shown]
.LBB0_15:
	s_or_b64 exec, exec, s[2:3]
	v_bfe_u32 v33, v0, 3, 3
	v_lshlrev_b32_e32 v1, 4, v33
	s_waitcnt lgkmcnt(0)
	s_barrier
	global_load_dwordx4 v[5:8], v1, s[16:17]
	v_mad_u64_u32 v[20:21], s[2:3], s15, v28, v[26:27]
	v_mad_u64_u32 v[21:22], s[2:3], s13, v27, v[25:26]
	;; [unrolled: 1-line block ×5, first 2 shown]
	v_add3_u32 v12, 0, v32, v18
	ds_read2st64_b64 v[28:31], v12 offset1:4
	ds_read_b64 v[1:2], v12 offset:4096
	v_lshrrev_b32_e32 v14, 6, v0
	v_mul_u32_u24_e32 v14, 24, v14
	v_or_b32_e32 v14, v14, v33
	v_lshlrev_b32_e32 v14, 6, v14
	v_add3_u32 v14, 0, v14, v18
	s_movk_i32 s2, 0xc0
	s_movk_i32 s4, 0xbf
	v_cmp_gt_u32_e64 s[2:3], s2, v0
	v_cmp_lt_u32_e64 s[4:5], s4, v0
	s_waitcnt vmcnt(0) lgkmcnt(0)
	s_barrier
	v_mul_f32_e32 v16, v6, v31
	v_mul_f32_e32 v18, v5, v31
	;; [unrolled: 1-line block ×4, first 2 shown]
	v_fma_f32 v5, v5, v30, -v16
	v_fmac_f32_e32 v18, v6, v30
	v_fma_f32 v1, v7, v1, -v25
	v_fmac_f32_e32 v8, v7, v2
	v_add_f32_e32 v2, v5, v28
	v_add_f32_e32 v6, v5, v1
	v_sub_f32_e32 v16, v18, v8
	v_add_f32_e32 v7, v18, v29
	v_add_f32_e32 v18, v18, v8
	v_sub_f32_e32 v25, v5, v1
	v_add_f32_e32 v5, v2, v1
	v_fma_f32 v1, -0.5, v6, v28
	v_fma_f32 v2, -0.5, v18, v29
	v_add_f32_e32 v6, v7, v8
	v_mov_b32_e32 v7, v1
	v_mov_b32_e32 v8, v2
	v_fmac_f32_e32 v1, 0xbf5db3d7, v16
	v_fmac_f32_e32 v2, 0x3f5db3d7, v25
	;; [unrolled: 1-line block ×4, first 2 shown]
	ds_write_b64 v14, v[1:2] offset:1024
	ds_write2st64_b64 v14, v[5:6], v[7:8] offset1:1
	s_waitcnt lgkmcnt(0)
	s_barrier
	s_and_saveexec_b64 s[6:7], s[4:5]
	s_xor_b64 s[4:5], exec, s[6:7]
; %bb.16:
                                        ; implicit-def: $vgpr12
; %bb.17:
	s_andn2_saveexec_b64 s[4:5], s[4:5]
	s_cbranch_execz .LBB0_19
; %bb.18:
	ds_read2st64_b64 v[5:8], v12 offset1:3
	ds_read2st64_b64 v[1:4], v12 offset0:6 offset1:9
.LBB0_19:
	s_or_b64 exec, exec, s[4:5]
	v_mul_lo_u16_e32 v0, 11, v27
	v_mov_b32_e32 v12, 24
	v_mul_lo_u16_sdwa v0, v0, v12 dst_sel:DWORD dst_unused:UNUSED_PAD src0_sel:BYTE_1 src1_sel:DWORD
	v_sub_u16_e32 v0, v27, v0
	v_mul_lo_u16_e32 v0, 3, v0
	v_mov_b32_e32 v12, 3
	v_lshlrev_b32_sdwa v0, v12, v0 dst_sel:DWORD dst_unused:UNUSED_PAD src0_sel:DWORD src1_sel:BYTE_0
	global_load_dwordx4 v[27:30], v0, s[16:17] offset:128
	global_load_dwordx2 v[31:32], v0, s[16:17] offset:144
	v_mov_b32_e32 v14, v20
	v_mov_b32_e32 v12, v21
	;; [unrolled: 1-line block ×5, first 2 shown]
	v_lshlrev_b64 v[25:26], 3, v[9:10]
	v_lshlrev_b64 v[23:24], 3, v[13:14]
	;; [unrolled: 1-line block ×6, first 2 shown]
	s_and_b64 s[4:5], s[2:3], vcc
	s_waitcnt vmcnt(1) lgkmcnt(1)
	v_mul_f32_e32 v0, v8, v28
	v_mul_f32_e32 v15, v7, v28
	s_waitcnt lgkmcnt(0)
	v_mul_f32_e32 v16, v2, v30
	v_mul_f32_e32 v17, v1, v30
	s_waitcnt vmcnt(0)
	v_mul_f32_e32 v18, v4, v32
	v_mul_f32_e32 v19, v3, v32
	v_fma_f32 v0, v7, v27, -v0
	v_fmac_f32_e32 v15, v8, v27
	v_fma_f32 v1, v1, v29, -v16
	v_fmac_f32_e32 v17, v2, v29
	;; [unrolled: 2-line block ×3, first 2 shown]
	v_sub_f32_e32 v4, v5, v1
	v_sub_f32_e32 v7, v6, v17
	;; [unrolled: 1-line block ×4, first 2 shown]
	v_fma_f32 v8, v5, 2.0, -v4
	v_fma_f32 v16, v6, 2.0, -v7
	;; [unrolled: 1-line block ×4, first 2 shown]
	v_sub_f32_e32 v0, v4, v2
	v_add_f32_e32 v1, v7, v1
	v_sub_f32_e32 v2, v8, v3
	v_sub_f32_e32 v3, v16, v5
	v_fma_f32 v4, v4, 2.0, -v0
	v_fma_f32 v5, v7, 2.0, -v1
	;; [unrolled: 1-line block ×4, first 2 shown]
	s_and_saveexec_b64 s[6:7], s[4:5]
	s_cbranch_execz .LBB0_21
; %bb.20:
	v_mov_b32_e32 v8, s9
	v_add_co_u32_e64 v15, s[4:5], s8, v25
	v_addc_co_u32_e64 v8, s[4:5], v8, v26, s[4:5]
	v_add_co_u32_e64 v17, s[4:5], v15, v23
	v_addc_co_u32_e64 v8, s[4:5], v8, v24, s[4:5]
	v_add_co_u32_e64 v15, s[4:5], v17, v21
	v_addc_co_u32_e64 v16, s[4:5], v8, v22, s[4:5]
	global_store_dwordx2 v[15:16], v[6:7], off
	v_add_co_u32_e64 v15, s[4:5], v17, v13
	v_addc_co_u32_e64 v16, s[4:5], v8, v14, s[4:5]
	global_store_dwordx2 v[15:16], v[4:5], off
	v_add_co_u32_e64 v15, s[4:5], v17, v11
	v_addc_co_u32_e64 v16, s[4:5], v8, v12, s[4:5]
	;; [unrolled: 3-line block ×3, first 2 shown]
	global_store_dwordx2 v[15:16], v[0:1], off
.LBB0_21:
	s_or_b64 exec, exec, s[6:7]
	s_xor_b64 s[4:5], vcc, -1
	s_and_b64 s[0:1], s[2:3], s[0:1]
	s_and_b64 s[0:1], s[4:5], s[0:1]
	s_and_saveexec_b64 s[2:3], s[0:1]
	s_cbranch_execz .LBB0_23
; %bb.22:
	v_mov_b32_e32 v8, s9
	v_add_co_u32_e32 v15, vcc, s8, v25
	v_addc_co_u32_e32 v8, vcc, v8, v26, vcc
	v_add_co_u32_e32 v17, vcc, v15, v23
	v_addc_co_u32_e32 v8, vcc, v8, v24, vcc
	;; [unrolled: 2-line block ×3, first 2 shown]
	global_store_dwordx2 v[15:16], v[6:7], off
	v_add_co_u32_e32 v6, vcc, v17, v13
	v_addc_co_u32_e32 v7, vcc, v8, v14, vcc
	global_store_dwordx2 v[6:7], v[4:5], off
	v_add_co_u32_e32 v4, vcc, v17, v11
	v_addc_co_u32_e32 v5, vcc, v8, v12, vcc
	;; [unrolled: 3-line block ×3, first 2 shown]
	global_store_dwordx2 v[2:3], v[0:1], off
.LBB0_23:
	s_endpgm
	.section	.rodata,"a",@progbits
	.p2align	6, 0x0
	.amdhsa_kernel fft_rtc_fwd_len96_factors_8_3_4_wgs_256_tpt_32_sp_ip_CI_sbcc_dirReg_intrinsicRead
		.amdhsa_group_segment_fixed_size 0
		.amdhsa_private_segment_fixed_size 0
		.amdhsa_kernarg_size 96
		.amdhsa_user_sgpr_count 6
		.amdhsa_user_sgpr_private_segment_buffer 1
		.amdhsa_user_sgpr_dispatch_ptr 0
		.amdhsa_user_sgpr_queue_ptr 0
		.amdhsa_user_sgpr_kernarg_segment_ptr 1
		.amdhsa_user_sgpr_dispatch_id 0
		.amdhsa_user_sgpr_flat_scratch_init 0
		.amdhsa_user_sgpr_private_segment_size 0
		.amdhsa_uses_dynamic_stack 0
		.amdhsa_system_sgpr_private_segment_wavefront_offset 0
		.amdhsa_system_sgpr_workgroup_id_x 1
		.amdhsa_system_sgpr_workgroup_id_y 0
		.amdhsa_system_sgpr_workgroup_id_z 0
		.amdhsa_system_sgpr_workgroup_info 0
		.amdhsa_system_vgpr_workitem_id 0
		.amdhsa_next_free_vgpr 48
		.amdhsa_next_free_sgpr 41
		.amdhsa_reserve_vcc 1
		.amdhsa_reserve_flat_scratch 0
		.amdhsa_float_round_mode_32 0
		.amdhsa_float_round_mode_16_64 0
		.amdhsa_float_denorm_mode_32 3
		.amdhsa_float_denorm_mode_16_64 3
		.amdhsa_dx10_clamp 1
		.amdhsa_ieee_mode 1
		.amdhsa_fp16_overflow 0
		.amdhsa_exception_fp_ieee_invalid_op 0
		.amdhsa_exception_fp_denorm_src 0
		.amdhsa_exception_fp_ieee_div_zero 0
		.amdhsa_exception_fp_ieee_overflow 0
		.amdhsa_exception_fp_ieee_underflow 0
		.amdhsa_exception_fp_ieee_inexact 0
		.amdhsa_exception_int_div_zero 0
	.end_amdhsa_kernel
	.text
.Lfunc_end0:
	.size	fft_rtc_fwd_len96_factors_8_3_4_wgs_256_tpt_32_sp_ip_CI_sbcc_dirReg_intrinsicRead, .Lfunc_end0-fft_rtc_fwd_len96_factors_8_3_4_wgs_256_tpt_32_sp_ip_CI_sbcc_dirReg_intrinsicRead
                                        ; -- End function
	.section	.AMDGPU.csdata,"",@progbits
; Kernel info:
; codeLenInByte = 3000
; NumSgprs: 45
; NumVgprs: 48
; ScratchSize: 0
; MemoryBound: 0
; FloatMode: 240
; IeeeMode: 1
; LDSByteSize: 0 bytes/workgroup (compile time only)
; SGPRBlocks: 5
; VGPRBlocks: 11
; NumSGPRsForWavesPerEU: 45
; NumVGPRsForWavesPerEU: 48
; Occupancy: 5
; WaveLimiterHint : 1
; COMPUTE_PGM_RSRC2:SCRATCH_EN: 0
; COMPUTE_PGM_RSRC2:USER_SGPR: 6
; COMPUTE_PGM_RSRC2:TRAP_HANDLER: 0
; COMPUTE_PGM_RSRC2:TGID_X_EN: 1
; COMPUTE_PGM_RSRC2:TGID_Y_EN: 0
; COMPUTE_PGM_RSRC2:TGID_Z_EN: 0
; COMPUTE_PGM_RSRC2:TIDIG_COMP_CNT: 0
	.type	__hip_cuid_2a0b1a8b6d0113af,@object ; @__hip_cuid_2a0b1a8b6d0113af
	.section	.bss,"aw",@nobits
	.globl	__hip_cuid_2a0b1a8b6d0113af
__hip_cuid_2a0b1a8b6d0113af:
	.byte	0                               ; 0x0
	.size	__hip_cuid_2a0b1a8b6d0113af, 1

	.ident	"AMD clang version 19.0.0git (https://github.com/RadeonOpenCompute/llvm-project roc-6.4.0 25133 c7fe45cf4b819c5991fe208aaa96edf142730f1d)"
	.section	".note.GNU-stack","",@progbits
	.addrsig
	.addrsig_sym __hip_cuid_2a0b1a8b6d0113af
	.amdgpu_metadata
---
amdhsa.kernels:
  - .args:
      - .actual_access:  read_only
        .address_space:  global
        .offset:         0
        .size:           8
        .value_kind:     global_buffer
      - .address_space:  global
        .offset:         8
        .size:           8
        .value_kind:     global_buffer
      - .offset:         16
        .size:           8
        .value_kind:     by_value
      - .actual_access:  read_only
        .address_space:  global
        .offset:         24
        .size:           8
        .value_kind:     global_buffer
      - .actual_access:  read_only
        .address_space:  global
        .offset:         32
        .size:           8
        .value_kind:     global_buffer
      - .offset:         40
        .size:           8
        .value_kind:     by_value
      - .actual_access:  read_only
        .address_space:  global
        .offset:         48
        .size:           8
        .value_kind:     global_buffer
      - .actual_access:  read_only
        .address_space:  global
        .offset:         56
        .size:           8
        .value_kind:     global_buffer
      - .offset:         64
        .size:           4
        .value_kind:     by_value
      - .actual_access:  read_only
        .address_space:  global
        .offset:         72
        .size:           8
        .value_kind:     global_buffer
      - .actual_access:  read_only
        .address_space:  global
        .offset:         80
        .size:           8
        .value_kind:     global_buffer
      - .address_space:  global
        .offset:         88
        .size:           8
        .value_kind:     global_buffer
    .group_segment_fixed_size: 0
    .kernarg_segment_align: 8
    .kernarg_segment_size: 96
    .language:       OpenCL C
    .language_version:
      - 2
      - 0
    .max_flat_workgroup_size: 256
    .name:           fft_rtc_fwd_len96_factors_8_3_4_wgs_256_tpt_32_sp_ip_CI_sbcc_dirReg_intrinsicRead
    .private_segment_fixed_size: 0
    .sgpr_count:     45
    .sgpr_spill_count: 0
    .symbol:         fft_rtc_fwd_len96_factors_8_3_4_wgs_256_tpt_32_sp_ip_CI_sbcc_dirReg_intrinsicRead.kd
    .uniform_work_group_size: 1
    .uses_dynamic_stack: false
    .vgpr_count:     48
    .vgpr_spill_count: 0
    .wavefront_size: 64
amdhsa.target:   amdgcn-amd-amdhsa--gfx906
amdhsa.version:
  - 1
  - 2
...

	.end_amdgpu_metadata
